;; amdgpu-corpus repo=ROCm/rocFFT kind=compiled arch=gfx906 opt=O3
	.text
	.amdgcn_target "amdgcn-amd-amdhsa--gfx906"
	.amdhsa_code_object_version 6
	.protected	fft_rtc_fwd_len81_factors_3_3_3_3_wgs_432_tpt_27_dp_op_CI_CI_sbcc_twdbase8_2step_dirReg_intrinsicRead ; -- Begin function fft_rtc_fwd_len81_factors_3_3_3_3_wgs_432_tpt_27_dp_op_CI_CI_sbcc_twdbase8_2step_dirReg_intrinsicRead
	.globl	fft_rtc_fwd_len81_factors_3_3_3_3_wgs_432_tpt_27_dp_op_CI_CI_sbcc_twdbase8_2step_dirReg_intrinsicRead
	.p2align	8
	.type	fft_rtc_fwd_len81_factors_3_3_3_3_wgs_432_tpt_27_dp_op_CI_CI_sbcc_twdbase8_2step_dirReg_intrinsicRead,@function
fft_rtc_fwd_len81_factors_3_3_3_3_wgs_432_tpt_27_dp_op_CI_CI_sbcc_twdbase8_2step_dirReg_intrinsicRead: ; @fft_rtc_fwd_len81_factors_3_3_3_3_wgs_432_tpt_27_dp_op_CI_CI_sbcc_twdbase8_2step_dirReg_intrinsicRead
; %bb.0:
	s_load_dwordx4 s[0:3], s[4:5], 0x18
	s_load_dwordx2 s[24:25], s[4:5], 0x28
	s_mov_b32 s7, 0
	s_mov_b64 s[26:27], 0
	s_waitcnt lgkmcnt(0)
	s_load_dwordx2 s[30:31], s[0:1], 0x8
	s_waitcnt lgkmcnt(0)
	s_add_u32 s8, s30, -1
	s_addc_u32 s9, s31, -1
	s_lshr_b64 s[8:9], s[8:9], 4
	s_add_u32 s34, s8, 1
	s_addc_u32 s35, s9, 0
	v_mov_b32_e32 v1, s34
	v_mov_b32_e32 v2, s35
	v_cmp_lt_u64_e32 vcc, s[6:7], v[1:2]
	s_cbranch_vccnz .LBB0_2
; %bb.1:
	v_cvt_f32_u32_e32 v1, s34
	s_sub_i32 s8, 0, s34
	s_mov_b32 s27, s7
	v_rcp_iflag_f32_e32 v1, v1
	v_mul_f32_e32 v1, 0x4f7ffffe, v1
	v_cvt_u32_f32_e32 v1, v1
	v_readfirstlane_b32 s9, v1
	s_mul_i32 s8, s8, s9
	s_mul_hi_u32 s8, s9, s8
	s_add_i32 s9, s9, s8
	s_mul_hi_u32 s8, s6, s9
	s_mul_i32 s10, s8, s34
	s_sub_i32 s10, s6, s10
	s_add_i32 s9, s8, 1
	s_sub_i32 s11, s10, s34
	s_cmp_ge_u32 s10, s34
	s_cselect_b32 s8, s9, s8
	s_cselect_b32 s10, s11, s10
	s_add_i32 s9, s8, 1
	s_cmp_ge_u32 s10, s34
	s_cselect_b32 s26, s9, s8
.LBB0_2:
	s_mul_i32 s16, s26, s35
	s_mul_hi_u32 s17, s26, s34
	s_load_dwordx4 s[12:15], s[4:5], 0x60
	s_load_dwordx4 s[20:23], s[2:3], 0x0
	;; [unrolled: 1-line block ×3, first 2 shown]
	s_add_i32 s17, s17, s16
	s_mul_i32 s16, s26, s34
	s_sub_u32 s36, s6, s16
	s_subb_u32 s37, 0, s17
	v_mov_b32_e32 v1, s36
	v_alignbit_b32 v1, s37, v1, 28
	s_waitcnt lgkmcnt(0)
	v_mul_lo_u32 v2, s22, v1
	s_lshl_b64 s[36:37], s[36:37], 4
	s_load_dwordx2 s[28:29], s[4:5], 0x0
	s_load_dwordx4 s[16:19], s[4:5], 0x8
	s_mul_hi_u32 s4, s22, s36
	v_mul_lo_u32 v1, s10, v1
	v_add_u32_e32 v2, s4, v2
	s_mul_i32 s4, s23, s36
	v_add_u32_e32 v5, s4, v2
	s_mul_i32 s4, s22, s36
	v_mov_b32_e32 v6, s4
	s_mul_hi_u32 s4, s10, s36
	v_add_u32_e32 v1, s4, v1
	s_mul_i32 s4, s11, s36
	v_add_u32_e32 v2, s4, v1
	s_waitcnt lgkmcnt(0)
	v_cmp_lt_u64_e64 s[4:5], s[18:19], 3
	s_mul_i32 s21, s10, s36
	v_mov_b32_e32 v1, s21
	s_and_b64 vcc, exec, s[4:5]
	s_cbranch_vccnz .LBB0_11
; %bb.3:
	s_add_u32 s4, s24, 16
	s_addc_u32 s5, s25, 0
	s_add_u32 s38, s2, 16
	s_addc_u32 s39, s3, 0
	s_add_u32 s40, s0, 16
	v_mov_b32_e32 v3, s18
	s_addc_u32 s41, s1, 0
	s_mov_b64 s[42:43], 2
	s_mov_b32 s44, 0
	v_mov_b32_e32 v4, s19
	s_branch .LBB0_5
.LBB0_4:                                ;   in Loop: Header=BB0_5 Depth=1
	s_mul_i32 s21, s46, s35
	s_mul_hi_u32 s23, s46, s34
	s_add_i32 s21, s23, s21
	s_mul_i32 s23, s47, s34
	s_add_i32 s35, s21, s23
	s_mul_i32 s21, s0, s47
	s_mul_hi_u32 s23, s0, s46
	s_load_dwordx2 s[48:49], s[38:39], 0x0
	s_add_i32 s21, s23, s21
	s_mul_i32 s23, s1, s46
	s_add_i32 s21, s21, s23
	s_mul_i32 s23, s0, s46
	s_sub_u32 s23, s26, s23
	s_subb_u32 s21, s27, s21
	s_waitcnt lgkmcnt(0)
	s_mul_i32 s26, s48, s21
	s_mul_hi_u32 s27, s48, s23
	s_add_i32 s26, s27, s26
	s_mul_i32 s27, s49, s23
	s_add_i32 s26, s26, s27
	v_mov_b32_e32 v7, s26
	s_load_dwordx2 s[26:27], s[4:5], 0x0
	s_mul_i32 s33, s48, s23
	v_add_co_u32_e32 v6, vcc, s33, v6
	v_addc_co_u32_e32 v5, vcc, v7, v5, vcc
	s_waitcnt lgkmcnt(0)
	s_mul_i32 s21, s26, s21
	s_mul_hi_u32 s33, s26, s23
	s_add_i32 s21, s33, s21
	s_mul_i32 s27, s27, s23
	s_add_i32 s21, s21, s27
	s_add_u32 s42, s42, 1
	s_addc_u32 s43, s43, 0
	s_mul_i32 s23, s26, s23
	s_add_u32 s4, s4, 8
	v_mov_b32_e32 v7, s21
	v_add_co_u32_e32 v1, vcc, s23, v1
	s_addc_u32 s5, s5, 0
	v_addc_co_u32_e32 v2, vcc, v7, v2, vcc
	s_add_u32 s38, s38, 8
	s_addc_u32 s39, s39, 0
	v_cmp_ge_u64_e32 vcc, s[42:43], v[3:4]
	s_add_u32 s40, s40, 8
	s_mul_i32 s34, s46, s34
	s_addc_u32 s41, s41, 0
	s_mov_b64 s[26:27], s[0:1]
	s_cbranch_vccnz .LBB0_9
.LBB0_5:                                ; =>This Inner Loop Header: Depth=1
	s_load_dwordx2 s[46:47], s[40:41], 0x0
	s_waitcnt lgkmcnt(0)
	s_or_b64 s[0:1], s[26:27], s[46:47]
	s_mov_b32 s45, s1
	s_cmp_lg_u64 s[44:45], 0
	s_cbranch_scc0 .LBB0_7
; %bb.6:                                ;   in Loop: Header=BB0_5 Depth=1
	v_cvt_f32_u32_e32 v7, s46
	v_cvt_f32_u32_e32 v8, s47
	s_sub_u32 s0, 0, s46
	s_subb_u32 s1, 0, s47
	v_mac_f32_e32 v7, 0x4f800000, v8
	v_rcp_f32_e32 v7, v7
	v_mul_f32_e32 v7, 0x5f7ffffc, v7
	v_mul_f32_e32 v8, 0x2f800000, v7
	v_trunc_f32_e32 v8, v8
	v_mac_f32_e32 v7, 0xcf800000, v8
	v_cvt_u32_f32_e32 v8, v8
	v_cvt_u32_f32_e32 v7, v7
	v_readfirstlane_b32 s21, v8
	v_readfirstlane_b32 s23, v7
	s_mul_i32 s33, s0, s21
	s_mul_hi_u32 s48, s0, s23
	s_mul_i32 s45, s1, s23
	s_add_i32 s33, s48, s33
	s_mul_i32 s49, s0, s23
	s_add_i32 s33, s33, s45
	s_mul_hi_u32 s45, s23, s33
	s_mul_i32 s48, s23, s33
	s_mul_hi_u32 s23, s23, s49
	s_add_u32 s23, s23, s48
	s_addc_u32 s45, 0, s45
	s_mul_hi_u32 s50, s21, s49
	s_mul_i32 s49, s21, s49
	s_add_u32 s23, s23, s49
	s_mul_hi_u32 s48, s21, s33
	s_addc_u32 s23, s45, s50
	s_addc_u32 s45, s48, 0
	s_mul_i32 s33, s21, s33
	s_add_u32 s23, s23, s33
	s_addc_u32 s33, 0, s45
	v_add_co_u32_e32 v7, vcc, s23, v7
	s_cmp_lg_u64 vcc, 0
	s_addc_u32 s21, s21, s33
	v_readfirstlane_b32 s33, v7
	s_mul_i32 s23, s0, s21
	s_mul_hi_u32 s45, s0, s33
	s_add_i32 s23, s45, s23
	s_mul_i32 s1, s1, s33
	s_add_i32 s23, s23, s1
	s_mul_i32 s0, s0, s33
	s_mul_hi_u32 s45, s21, s0
	s_mul_i32 s48, s21, s0
	s_mul_i32 s50, s33, s23
	s_mul_hi_u32 s0, s33, s0
	s_mul_hi_u32 s49, s33, s23
	s_add_u32 s0, s0, s50
	s_addc_u32 s33, 0, s49
	s_add_u32 s0, s0, s48
	s_mul_hi_u32 s1, s21, s23
	s_addc_u32 s0, s33, s45
	s_addc_u32 s1, s1, 0
	s_mul_i32 s23, s21, s23
	s_add_u32 s0, s0, s23
	s_addc_u32 s1, 0, s1
	v_add_co_u32_e32 v7, vcc, s0, v7
	s_cmp_lg_u64 vcc, 0
	s_addc_u32 s0, s21, s1
	v_readfirstlane_b32 s23, v7
	s_mul_i32 s21, s26, s0
	s_mul_hi_u32 s33, s26, s23
	s_mul_hi_u32 s1, s26, s0
	s_add_u32 s21, s33, s21
	s_addc_u32 s1, 0, s1
	s_mul_hi_u32 s45, s27, s23
	s_mul_i32 s23, s27, s23
	s_add_u32 s21, s21, s23
	s_mul_hi_u32 s33, s27, s0
	s_addc_u32 s1, s1, s45
	s_addc_u32 s21, s33, 0
	s_mul_i32 s0, s27, s0
	s_add_u32 s23, s1, s0
	s_addc_u32 s21, 0, s21
	s_mul_i32 s0, s46, s21
	s_mul_hi_u32 s1, s46, s23
	s_add_i32 s0, s1, s0
	s_mul_i32 s1, s47, s23
	s_add_i32 s33, s0, s1
	s_mul_i32 s1, s46, s23
	v_mov_b32_e32 v7, s1
	s_sub_i32 s0, s27, s33
	v_sub_co_u32_e32 v7, vcc, s26, v7
	s_cmp_lg_u64 vcc, 0
	s_subb_u32 s45, s0, s47
	v_subrev_co_u32_e64 v8, s[0:1], s46, v7
	s_cmp_lg_u64 s[0:1], 0
	s_subb_u32 s0, s45, 0
	s_cmp_ge_u32 s0, s47
	v_readfirstlane_b32 s45, v8
	s_cselect_b32 s1, -1, 0
	s_cmp_ge_u32 s45, s46
	s_cselect_b32 s45, -1, 0
	s_cmp_eq_u32 s0, s47
	s_cselect_b32 s0, s45, s1
	s_add_u32 s1, s23, 1
	s_addc_u32 s45, s21, 0
	s_add_u32 s48, s23, 2
	s_addc_u32 s49, s21, 0
	s_cmp_lg_u32 s0, 0
	s_cselect_b32 s0, s48, s1
	s_cselect_b32 s1, s49, s45
	s_cmp_lg_u64 vcc, 0
	s_subb_u32 s33, s27, s33
	s_cmp_ge_u32 s33, s47
	v_readfirstlane_b32 s48, v7
	s_cselect_b32 s45, -1, 0
	s_cmp_ge_u32 s48, s46
	s_cselect_b32 s48, -1, 0
	s_cmp_eq_u32 s33, s47
	s_cselect_b32 s33, s48, s45
	s_cmp_lg_u32 s33, 0
	s_cselect_b32 s1, s1, s21
	s_cselect_b32 s0, s0, s23
	s_cbranch_execnz .LBB0_4
	s_branch .LBB0_8
.LBB0_7:                                ;   in Loop: Header=BB0_5 Depth=1
                                        ; implicit-def: $sgpr0_sgpr1
.LBB0_8:                                ;   in Loop: Header=BB0_5 Depth=1
	v_cvt_f32_u32_e32 v7, s46
	s_sub_i32 s0, 0, s46
	v_rcp_iflag_f32_e32 v7, v7
	v_mul_f32_e32 v7, 0x4f7ffffe, v7
	v_cvt_u32_f32_e32 v7, v7
	v_readfirstlane_b32 s1, v7
	s_mul_i32 s0, s0, s1
	s_mul_hi_u32 s0, s1, s0
	s_add_i32 s1, s1, s0
	s_mul_hi_u32 s0, s26, s1
	s_mul_i32 s21, s0, s46
	s_sub_i32 s21, s26, s21
	s_add_i32 s1, s0, 1
	s_sub_i32 s23, s21, s46
	s_cmp_ge_u32 s21, s46
	s_cselect_b32 s0, s1, s0
	s_cselect_b32 s21, s23, s21
	s_add_i32 s1, s0, 1
	s_cmp_ge_u32 s21, s46
	s_cselect_b32 s0, s1, s0
	s_mov_b32 s1, s44
	s_branch .LBB0_4
.LBB0_9:
	v_mov_b32_e32 v3, s34
	v_mov_b32_e32 v4, s35
	v_cmp_lt_u64_e32 vcc, s[6:7], v[3:4]
	s_mov_b64 s[26:27], 0
	s_cbranch_vccnz .LBB0_11
; %bb.10:
	v_cvt_f32_u32_e32 v3, s34
	s_sub_i32 s0, 0, s34
	v_rcp_iflag_f32_e32 v3, v3
	v_mul_f32_e32 v3, 0x4f7ffffe, v3
	v_cvt_u32_f32_e32 v3, v3
	v_readfirstlane_b32 s1, v3
	s_mul_i32 s0, s0, s1
	s_mul_hi_u32 s0, s1, s0
	s_add_i32 s1, s1, s0
	s_mul_hi_u32 s0, s6, s1
	s_mul_i32 s4, s0, s34
	s_sub_i32 s4, s6, s4
	s_add_i32 s1, s0, 1
	s_sub_i32 s5, s4, s34
	s_cmp_ge_u32 s4, s34
	s_cselect_b32 s0, s1, s0
	s_cselect_b32 s4, s5, s4
	s_add_i32 s1, s0, 1
	s_cmp_ge_u32 s4, s34
	s_cselect_b32 s26, s1, s0
.LBB0_11:
	s_lshl_b64 s[4:5], s[18:19], 3
	s_add_u32 s0, s2, s4
	s_addc_u32 s1, s3, s5
	s_load_dword s1, s[0:1], 0x0
	s_add_u32 s0, s36, 16
	v_mov_b32_e32 v7, s30
	v_mov_b32_e32 v8, s31
	v_and_b32_e32 v5, 15, v0
	s_waitcnt lgkmcnt(0)
	s_mul_i32 s1, s1, s26
	v_add_u32_e32 v9, s1, v6
	s_addc_u32 s1, s37, 0
	v_lshrrev_b32_e32 v6, 4, v0
	v_cmp_le_u64_e32 vcc, s[0:1], v[7:8]
	v_lshlrev_b32_e32 v7, 4, v9
	v_add_u32_e32 v8, 27, v6
	v_add_u32_e32 v9, 54, v6
	v_mul_lo_u32 v10, s22, v5
	v_mul_lo_u32 v8, s20, v8
	;; [unrolled: 1-line block ×3, first 2 shown]
	v_mov_b32_e32 v4, s37
	v_or_b32_e32 v3, s36, v5
	v_mul_lo_u32 v11, s20, v6
	v_cmp_gt_u64_e64 s[0:1], s[30:31], v[3:4]
	v_readfirstlane_b32 s6, v7
	s_or_b64 vcc, vcc, s[0:1]
	v_add_lshl_u32 v7, v10, v8, 4
	v_add_lshl_u32 v8, v10, v9, 4
	;; [unrolled: 1-line block ×3, first 2 shown]
	s_mov_b32 s3, 0x20000
	s_mov_b32 s2, -2
	s_mov_b32 s0, s12
	s_mov_b32 s1, s13
	v_cndmask_b32_e32 v20, -1, v8, vcc
	v_cndmask_b32_e32 v4, -1, v4, vcc
	;; [unrolled: 1-line block ×3, first 2 shown]
	buffer_load_dwordx4 v[8:11], v20, s[0:3], s6 offen
	buffer_load_dwordx4 v[12:15], v7, s[0:3], s6 offen
	;; [unrolled: 1-line block ×3, first 2 shown]
	s_mov_b32 s0, 0xe8584caa
	s_mov_b32 s1, 0x3febb67a
	;; [unrolled: 1-line block ×4, first 2 shown]
	v_mov_b32_e32 v4, 3
	v_mul_lo_u16_e32 v32, 0x56, v6
	v_mul_lo_u16_sdwa v4, v32, v4 dst_sel:DWORD dst_unused:UNUSED_PAD src0_sel:BYTE_1 src1_sel:DWORD
	v_sub_u16_e32 v4, v6, v4
	v_lshlrev_b32_e32 v7, 4, v5
	v_and_b32_e32 v33, 0xff, v4
	v_lshlrev_b32_e32 v4, 5, v33
	v_mul_lo_u16_e32 v34, 29, v6
	s_waitcnt vmcnt(1)
	v_add_f64 v[20:21], v[12:13], v[8:9]
	v_add_f64 v[22:23], v[14:15], v[10:11]
	s_waitcnt vmcnt(0)
	v_add_f64 v[24:25], v[16:17], v[12:13]
	v_add_f64 v[26:27], v[18:19], v[14:15]
	v_add_f64 v[14:15], v[14:15], -v[10:11]
	v_fma_f64 v[16:17], v[20:21], -0.5, v[16:17]
	v_add_f64 v[20:21], v[12:13], -v[8:9]
	v_fma_f64 v[18:19], v[22:23], -0.5, v[18:19]
	v_add_f64 v[8:9], v[24:25], v[8:9]
	v_add_f64 v[10:11], v[26:27], v[10:11]
	v_mul_u32_u24_e32 v22, 0x300, v6
	v_fma_f64 v[12:13], v[14:15], s[0:1], v[16:17]
	v_fma_f64 v[16:17], v[14:15], s[2:3], v[16:17]
	;; [unrolled: 1-line block ×4, first 2 shown]
	v_add3_u32 v20, 0, v22, v7
	ds_write_b128 v20, v[8:11]
	ds_write_b128 v20, v[12:15] offset:256
	ds_write_b128 v20, v[16:19] offset:512
	s_waitcnt lgkmcnt(0)
	s_barrier
	global_load_dwordx4 v[8:11], v4, s[28:29]
	global_load_dwordx4 v[12:15], v4, s[28:29] offset:16
	v_lshlrev_b32_e32 v4, 9, v6
	v_sub_u32_e32 v4, v20, v4
	ds_read_b128 v[16:19], v4 offset:6912
	ds_read_b128 v[20:23], v4
	ds_read_b128 v[24:27], v4 offset:13824
	s_waitcnt vmcnt(0) lgkmcnt(0)
	s_barrier
	v_mul_f64 v[28:29], v[18:19], v[10:11]
	v_mul_f64 v[10:11], v[16:17], v[10:11]
	;; [unrolled: 1-line block ×3, first 2 shown]
	v_fma_f64 v[16:17], v[16:17], v[8:9], -v[28:29]
	v_fma_f64 v[8:9], v[18:19], v[8:9], v[10:11]
	v_mul_f64 v[10:11], v[24:25], v[14:15]
	v_fma_f64 v[14:15], v[24:25], v[12:13], -v[30:31]
	v_mov_b32_e32 v24, 9
	v_mul_u32_u24_sdwa v32, v32, v24 dst_sel:DWORD dst_unused:UNUSED_PAD src0_sel:BYTE_1 src1_sel:DWORD
	v_mul_lo_u16_sdwa v35, v34, v24 dst_sel:DWORD dst_unused:UNUSED_PAD src0_sel:BYTE_1 src1_sel:DWORD
	v_add_f64 v[24:25], v[22:23], v[8:9]
	v_fma_f64 v[10:11], v[26:27], v[12:13], v[10:11]
	v_add_f64 v[12:13], v[16:17], v[14:15]
	v_add_f64 v[26:27], v[20:21], v[16:17]
	v_add_f64 v[30:31], v[16:17], -v[14:15]
	v_add_f64 v[18:19], v[8:9], v[10:11]
	v_add_f64 v[28:29], v[8:9], -v[10:11]
	v_fma_f64 v[20:21], v[12:13], -0.5, v[20:21]
	v_sub_u16_e32 v8, v6, v35
	v_and_b32_e32 v35, 0xff, v8
	v_add_f64 v[10:11], v[24:25], v[10:11]
	v_add_f64 v[8:9], v[26:27], v[14:15]
	v_fma_f64 v[18:19], v[18:19], -0.5, v[22:23]
	v_add_lshl_u32 v22, v32, v33, 8
	v_fma_f64 v[12:13], v[28:29], s[0:1], v[20:21]
	v_fma_f64 v[16:17], v[28:29], s[2:3], v[20:21]
	v_lshlrev_b32_e32 v20, 5, v35
	v_add3_u32 v21, 0, v22, v7
	v_fma_f64 v[14:15], v[30:31], s[2:3], v[18:19]
	v_fma_f64 v[18:19], v[30:31], s[0:1], v[18:19]
	ds_write_b128 v21, v[8:11]
	ds_write_b128 v21, v[12:15] offset:768
	ds_write_b128 v21, v[16:19] offset:1536
	s_waitcnt lgkmcnt(0)
	s_barrier
	global_load_dwordx4 v[8:11], v20, s[28:29] offset:96
	global_load_dwordx4 v[12:15], v20, s[28:29] offset:112
	ds_read_b128 v[16:19], v4 offset:6912
	ds_read_b128 v[20:23], v4
	ds_read_b128 v[24:27], v4 offset:13824
	s_waitcnt vmcnt(0) lgkmcnt(0)
	s_barrier
	v_mul_f64 v[28:29], v[18:19], v[10:11]
	v_mul_f64 v[10:11], v[16:17], v[10:11]
	;; [unrolled: 1-line block ×3, first 2 shown]
	v_fma_f64 v[16:17], v[16:17], v[8:9], -v[28:29]
	v_fma_f64 v[8:9], v[18:19], v[8:9], v[10:11]
	v_mul_f64 v[10:11], v[24:25], v[14:15]
	v_fma_f64 v[14:15], v[24:25], v[12:13], -v[30:31]
	v_add_f64 v[24:25], v[22:23], v[8:9]
	v_fma_f64 v[10:11], v[26:27], v[12:13], v[10:11]
	v_add_f64 v[12:13], v[16:17], v[14:15]
	v_add_f64 v[26:27], v[20:21], v[16:17]
	v_add_f64 v[30:31], v[16:17], -v[14:15]
	v_add_f64 v[18:19], v[8:9], v[10:11]
	v_add_f64 v[28:29], v[8:9], -v[10:11]
	v_fma_f64 v[20:21], v[12:13], -0.5, v[20:21]
	v_mov_b32_e32 v8, 27
	v_add_f64 v[10:11], v[24:25], v[10:11]
	v_fma_f64 v[18:19], v[18:19], -0.5, v[22:23]
	v_mul_lo_u16_sdwa v22, v34, v8 dst_sel:DWORD dst_unused:UNUSED_PAD src0_sel:BYTE_1 src1_sel:DWORD
	v_add_f64 v[8:9], v[26:27], v[14:15]
	v_fma_f64 v[12:13], v[28:29], s[0:1], v[20:21]
	v_fma_f64 v[16:17], v[28:29], s[2:3], v[20:21]
	v_add_lshl_u32 v20, v22, v35, 8
	v_add3_u32 v7, 0, v20, v7
	v_fma_f64 v[14:15], v[30:31], s[2:3], v[18:19]
	v_fma_f64 v[18:19], v[30:31], s[0:1], v[18:19]
	ds_write_b128 v7, v[8:11]
	ds_write_b128 v7, v[12:15] offset:2304
	ds_write_b128 v7, v[16:19] offset:4608
	s_waitcnt lgkmcnt(0)
	s_barrier
	s_and_saveexec_b64 s[6:7], vcc
	s_cbranch_execz .LBB0_13
; %bb.12:
	v_mov_b32_e32 v7, 19
	v_mul_lo_u16_sdwa v7, v6, v7 dst_sel:DWORD dst_unused:UNUSED_PAD src0_sel:BYTE_0 src1_sel:DWORD
	v_lshrrev_b16_e32 v7, 9, v7
	v_mul_lo_u16_e32 v7, 27, v7
	v_sub_u16_e32 v6, v6, v7
	v_and_b32_e32 v6, 0xff, v6
	v_lshlrev_b32_e32 v15, 5, v6
	global_load_dwordx4 v[7:10], v15, s[28:29] offset:384
	global_load_dwordx4 v[11:14], v15, s[28:29] offset:400
	ds_read_b128 v[15:18], v4 offset:6912
	ds_read_b128 v[19:22], v4 offset:13824
	ds_read_b128 v[23:26], v4
	v_mul_lo_u32 v4, v3, v6
	v_mov_b32_e32 v31, 4
	v_mov_b32_e32 v32, 0x1000
	s_add_u32 s4, s24, s4
	s_addc_u32 s5, s25, s5
	s_waitcnt vmcnt(1) lgkmcnt(2)
	v_mul_f64 v[27:28], v[17:18], v[9:10]
	v_mul_f64 v[9:10], v[15:16], v[9:10]
	s_waitcnt vmcnt(0) lgkmcnt(1)
	v_mul_f64 v[29:30], v[21:22], v[13:14]
	v_mul_f64 v[13:14], v[19:20], v[13:14]
	v_fma_f64 v[15:16], v[15:16], v[7:8], -v[27:28]
	v_lshlrev_b32_sdwa v27, v31, v4 dst_sel:DWORD dst_unused:UNUSED_PAD src0_sel:DWORD src1_sel:BYTE_0
	v_bfe_u32 v4, v4, 8, 8
	v_fma_f64 v[17:18], v[17:18], v[7:8], v[9:10]
	v_lshl_or_b32 v4, v4, 4, v32
	v_fma_f64 v[19:20], v[19:20], v[11:12], -v[29:30]
	v_fma_f64 v[21:22], v[21:22], v[11:12], v[13:14]
	global_load_dwordx4 v[7:10], v27, s[16:17]
	global_load_dwordx4 v[11:14], v4, s[16:17]
	v_add_u32_e32 v4, 54, v6
	v_mul_lo_u32 v4, v3, v4
	v_lshlrev_b32_sdwa v33, v31, v4 dst_sel:DWORD dst_unused:UNUSED_PAD src0_sel:DWORD src1_sel:BYTE_0
	v_bfe_u32 v4, v4, 8, 8
	v_lshl_or_b32 v4, v4, 4, v32
	s_waitcnt vmcnt(0)
	v_mul_f64 v[27:28], v[9:10], v[13:14]
	v_mul_f64 v[13:14], v[7:8], v[13:14]
	v_fma_f64 v[27:28], v[7:8], v[11:12], -v[27:28]
	v_fma_f64 v[29:30], v[9:10], v[11:12], v[13:14]
	global_load_dwordx4 v[7:10], v33, s[16:17]
	global_load_dwordx4 v[11:14], v4, s[16:17]
	v_add_u32_e32 v4, 27, v6
	v_mul_lo_u32 v33, v3, v4
	v_lshlrev_b32_sdwa v35, v31, v33 dst_sel:DWORD dst_unused:UNUSED_PAD src0_sel:DWORD src1_sel:BYTE_0
	v_bfe_u32 v31, v33, 8, 8
	v_lshl_or_b32 v36, v31, 4, v32
	s_waitcnt vmcnt(0)
	v_mul_f64 v[3:4], v[9:10], v[13:14]
	v_mul_f64 v[13:14], v[7:8], v[13:14]
	v_fma_f64 v[31:32], v[7:8], v[11:12], -v[3:4]
	v_fma_f64 v[33:34], v[9:10], v[11:12], v[13:14]
	global_load_dwordx4 v[7:10], v35, s[16:17]
	global_load_dwordx4 v[11:14], v36, s[16:17]
	s_load_dwordx2 s[4:5], s[4:5], 0x0
	s_waitcnt lgkmcnt(0)
	s_mul_i32 s5, s5, s26
	s_waitcnt vmcnt(0)
	v_mul_f64 v[3:4], v[9:10], v[13:14]
	v_fma_f64 v[35:36], v[7:8], v[11:12], -v[3:4]
	v_mul_f64 v[3:4], v[7:8], v[13:14]
	v_mad_u64_u32 v[7:8], s[6:7], s10, v5, 0
	s_mul_hi_u32 s10, s4, s26
	s_mul_i32 s4, s4, s26
	s_add_i32 s5, s10, s5
	s_lshl_b64 s[4:5], s[4:5], 4
	v_fma_f64 v[3:4], v[9:10], v[11:12], v[3:4]
	v_lshrrev_b16_e32 v9, 4, v0
	v_lshlrev_b64 v[0:1], 4, v[1:2]
	v_mul_u32_u24_e32 v2, 0x12f7, v9
	v_lshrrev_b32_e32 v2, 17, v2
	v_mul_lo_u16_e32 v10, 0x51, v2
	v_mov_b32_e32 v2, v8
	v_mad_u64_u32 v[8:9], s[6:7], s11, v5, v[2:3]
	v_add_u32_e32 v9, v10, v6
	v_mad_u64_u32 v[5:6], s[6:7], s8, v9, 0
	s_add_u32 s6, s14, s4
	s_addc_u32 s4, s15, s5
	v_mov_b32_e32 v2, v6
	v_add_u32_e32 v11, 27, v9
	v_add_u32_e32 v14, 54, v9
	v_mov_b32_e32 v6, s4
	v_mad_u64_u32 v[9:10], s[4:5], s9, v9, v[2:3]
	v_add_co_u32_e32 v2, vcc, s6, v0
	v_addc_co_u32_e32 v10, vcc, v6, v1, vcc
	v_mad_u64_u32 v[0:1], s[4:5], s8, v11, 0
	v_mad_u64_u32 v[12:13], s[4:5], s8, v14, 0
	v_lshlrev_b64 v[6:7], 4, v[7:8]
	v_add_co_u32_e32 v41, vcc, v2, v6
	v_mad_u64_u32 v[1:2], s[4:5], s9, v11, v[1:2]
	v_mov_b32_e32 v2, v13
	v_addc_co_u32_e32 v42, vcc, v10, v7, vcc
	v_mad_u64_u32 v[7:8], s[4:5], s9, v14, v[2:3]
	v_mov_b32_e32 v6, v9
	v_add_f64 v[8:9], v[17:18], v[21:22]
	v_add_f64 v[10:11], v[15:16], v[19:20]
	v_mov_b32_e32 v13, v7
	v_lshlrev_b64 v[5:6], 4, v[5:6]
	v_lshlrev_b64 v[39:40], 4, v[0:1]
	v_fma_f64 v[7:8], v[8:9], -0.5, v[25:26]
	v_fma_f64 v[9:10], v[10:11], -0.5, v[23:24]
	v_add_f64 v[23:24], v[23:24], v[15:16]
	v_add_f64 v[25:26], v[25:26], v[17:18]
	v_add_f64 v[17:18], v[17:18], -v[21:22]
	v_add_f64 v[14:15], v[15:16], -v[19:20]
	v_add_f64 v[19:20], v[23:24], v[19:20]
	v_add_f64 v[21:22], v[25:26], v[21:22]
	v_fma_f64 v[23:24], v[17:18], s[2:3], v[9:10]
	v_fma_f64 v[9:10], v[17:18], s[0:1], v[9:10]
	;; [unrolled: 1-line block ×3, first 2 shown]
	v_add_co_u32_e32 v25, vcc, v41, v5
	v_addc_co_u32_e32 v26, vcc, v42, v6, vcc
	v_mul_f64 v[5:6], v[19:20], v[29:30]
	v_mul_f64 v[29:30], v[21:22], v[29:30]
	v_fma_f64 v[14:15], v[14:15], s[0:1], v[7:8]
	v_mul_f64 v[7:8], v[9:10], v[3:4]
	v_mul_f64 v[37:38], v[16:17], v[3:4]
	v_fma_f64 v[2:3], v[21:22], v[27:28], v[5:6]
	v_fma_f64 v[0:1], v[19:20], v[27:28], -v[29:30]
	v_mul_f64 v[18:19], v[23:24], v[33:34]
	v_mul_f64 v[20:21], v[14:15], v[33:34]
	v_fma_f64 v[6:7], v[16:17], v[35:36], v[7:8]
	v_fma_f64 v[4:5], v[9:10], v[35:36], -v[37:38]
	v_add_co_u32_e32 v16, vcc, v41, v39
	v_addc_co_u32_e32 v17, vcc, v42, v40, vcc
	v_fma_f64 v[10:11], v[14:15], v[31:32], v[18:19]
	v_fma_f64 v[8:9], v[23:24], v[31:32], -v[20:21]
	global_store_dwordx4 v[25:26], v[0:3], off
	global_store_dwordx4 v[16:17], v[4:7], off
	v_lshlrev_b64 v[0:1], 4, v[12:13]
	v_add_co_u32_e32 v0, vcc, v41, v0
	v_addc_co_u32_e32 v1, vcc, v42, v1, vcc
	global_store_dwordx4 v[0:1], v[8:11], off
.LBB0_13:
	s_endpgm
	.section	.rodata,"a",@progbits
	.p2align	6, 0x0
	.amdhsa_kernel fft_rtc_fwd_len81_factors_3_3_3_3_wgs_432_tpt_27_dp_op_CI_CI_sbcc_twdbase8_2step_dirReg_intrinsicRead
		.amdhsa_group_segment_fixed_size 0
		.amdhsa_private_segment_fixed_size 0
		.amdhsa_kernarg_size 112
		.amdhsa_user_sgpr_count 6
		.amdhsa_user_sgpr_private_segment_buffer 1
		.amdhsa_user_sgpr_dispatch_ptr 0
		.amdhsa_user_sgpr_queue_ptr 0
		.amdhsa_user_sgpr_kernarg_segment_ptr 1
		.amdhsa_user_sgpr_dispatch_id 0
		.amdhsa_user_sgpr_flat_scratch_init 0
		.amdhsa_user_sgpr_private_segment_size 0
		.amdhsa_uses_dynamic_stack 0
		.amdhsa_system_sgpr_private_segment_wavefront_offset 0
		.amdhsa_system_sgpr_workgroup_id_x 1
		.amdhsa_system_sgpr_workgroup_id_y 0
		.amdhsa_system_sgpr_workgroup_id_z 0
		.amdhsa_system_sgpr_workgroup_info 0
		.amdhsa_system_vgpr_workitem_id 0
		.amdhsa_next_free_vgpr 43
		.amdhsa_next_free_sgpr 51
		.amdhsa_reserve_vcc 1
		.amdhsa_reserve_flat_scratch 0
		.amdhsa_float_round_mode_32 0
		.amdhsa_float_round_mode_16_64 0
		.amdhsa_float_denorm_mode_32 3
		.amdhsa_float_denorm_mode_16_64 3
		.amdhsa_dx10_clamp 1
		.amdhsa_ieee_mode 1
		.amdhsa_fp16_overflow 0
		.amdhsa_exception_fp_ieee_invalid_op 0
		.amdhsa_exception_fp_denorm_src 0
		.amdhsa_exception_fp_ieee_div_zero 0
		.amdhsa_exception_fp_ieee_overflow 0
		.amdhsa_exception_fp_ieee_underflow 0
		.amdhsa_exception_fp_ieee_inexact 0
		.amdhsa_exception_int_div_zero 0
	.end_amdhsa_kernel
	.text
.Lfunc_end0:
	.size	fft_rtc_fwd_len81_factors_3_3_3_3_wgs_432_tpt_27_dp_op_CI_CI_sbcc_twdbase8_2step_dirReg_intrinsicRead, .Lfunc_end0-fft_rtc_fwd_len81_factors_3_3_3_3_wgs_432_tpt_27_dp_op_CI_CI_sbcc_twdbase8_2step_dirReg_intrinsicRead
                                        ; -- End function
	.section	.AMDGPU.csdata,"",@progbits
; Kernel info:
; codeLenInByte = 3252
; NumSgprs: 55
; NumVgprs: 43
; ScratchSize: 0
; MemoryBound: 0
; FloatMode: 240
; IeeeMode: 1
; LDSByteSize: 0 bytes/workgroup (compile time only)
; SGPRBlocks: 6
; VGPRBlocks: 10
; NumSGPRsForWavesPerEU: 55
; NumVGPRsForWavesPerEU: 43
; Occupancy: 5
; WaveLimiterHint : 1
; COMPUTE_PGM_RSRC2:SCRATCH_EN: 0
; COMPUTE_PGM_RSRC2:USER_SGPR: 6
; COMPUTE_PGM_RSRC2:TRAP_HANDLER: 0
; COMPUTE_PGM_RSRC2:TGID_X_EN: 1
; COMPUTE_PGM_RSRC2:TGID_Y_EN: 0
; COMPUTE_PGM_RSRC2:TGID_Z_EN: 0
; COMPUTE_PGM_RSRC2:TIDIG_COMP_CNT: 0
	.type	__hip_cuid_414f33a3d674e818,@object ; @__hip_cuid_414f33a3d674e818
	.section	.bss,"aw",@nobits
	.globl	__hip_cuid_414f33a3d674e818
__hip_cuid_414f33a3d674e818:
	.byte	0                               ; 0x0
	.size	__hip_cuid_414f33a3d674e818, 1

	.ident	"AMD clang version 19.0.0git (https://github.com/RadeonOpenCompute/llvm-project roc-6.4.0 25133 c7fe45cf4b819c5991fe208aaa96edf142730f1d)"
	.section	".note.GNU-stack","",@progbits
	.addrsig
	.addrsig_sym __hip_cuid_414f33a3d674e818
	.amdgpu_metadata
---
amdhsa.kernels:
  - .args:
      - .actual_access:  read_only
        .address_space:  global
        .offset:         0
        .size:           8
        .value_kind:     global_buffer
      - .address_space:  global
        .offset:         8
        .size:           8
        .value_kind:     global_buffer
      - .offset:         16
        .size:           8
        .value_kind:     by_value
      - .actual_access:  read_only
        .address_space:  global
        .offset:         24
        .size:           8
        .value_kind:     global_buffer
      - .actual_access:  read_only
        .address_space:  global
        .offset:         32
        .size:           8
        .value_kind:     global_buffer
      - .actual_access:  read_only
        .address_space:  global
        .offset:         40
        .size:           8
        .value_kind:     global_buffer
      - .offset:         48
        .size:           8
        .value_kind:     by_value
      - .actual_access:  read_only
        .address_space:  global
        .offset:         56
        .size:           8
        .value_kind:     global_buffer
      - .actual_access:  read_only
        .address_space:  global
        .offset:         64
        .size:           8
        .value_kind:     global_buffer
      - .offset:         72
        .size:           4
        .value_kind:     by_value
      - .actual_access:  read_only
        .address_space:  global
        .offset:         80
        .size:           8
        .value_kind:     global_buffer
      - .actual_access:  read_only
        .address_space:  global
        .offset:         88
        .size:           8
        .value_kind:     global_buffer
      - .address_space:  global
        .offset:         96
        .size:           8
        .value_kind:     global_buffer
      - .actual_access:  write_only
        .address_space:  global
        .offset:         104
        .size:           8
        .value_kind:     global_buffer
    .group_segment_fixed_size: 0
    .kernarg_segment_align: 8
    .kernarg_segment_size: 112
    .language:       OpenCL C
    .language_version:
      - 2
      - 0
    .max_flat_workgroup_size: 432
    .name:           fft_rtc_fwd_len81_factors_3_3_3_3_wgs_432_tpt_27_dp_op_CI_CI_sbcc_twdbase8_2step_dirReg_intrinsicRead
    .private_segment_fixed_size: 0
    .sgpr_count:     55
    .sgpr_spill_count: 0
    .symbol:         fft_rtc_fwd_len81_factors_3_3_3_3_wgs_432_tpt_27_dp_op_CI_CI_sbcc_twdbase8_2step_dirReg_intrinsicRead.kd
    .uniform_work_group_size: 1
    .uses_dynamic_stack: false
    .vgpr_count:     43
    .vgpr_spill_count: 0
    .wavefront_size: 64
amdhsa.target:   amdgcn-amd-amdhsa--gfx906
amdhsa.version:
  - 1
  - 2
...

	.end_amdgpu_metadata
